;; amdgpu-corpus repo=ROCm/rocFFT kind=compiled arch=gfx906 opt=O3
	.text
	.amdgcn_target "amdgcn-amd-amdhsa--gfx906"
	.amdhsa_code_object_version 6
	.protected	bluestein_single_back_len504_dim1_sp_op_CI_CI ; -- Begin function bluestein_single_back_len504_dim1_sp_op_CI_CI
	.globl	bluestein_single_back_len504_dim1_sp_op_CI_CI
	.p2align	8
	.type	bluestein_single_back_len504_dim1_sp_op_CI_CI,@function
bluestein_single_back_len504_dim1_sp_op_CI_CI: ; @bluestein_single_back_len504_dim1_sp_op_CI_CI
; %bb.0:
	s_load_dwordx4 s[12:15], s[4:5], 0x28
	v_mul_u32_u24_e32 v1, 0x411, v0
	v_add_u32_sdwa v54, s6, v1 dst_sel:DWORD dst_unused:UNUSED_PAD src0_sel:DWORD src1_sel:WORD_1
	v_mov_b32_e32 v55, 0
	s_waitcnt lgkmcnt(0)
	v_cmp_gt_u64_e32 vcc, s[12:13], v[54:55]
	s_and_saveexec_b64 s[0:1], vcc
	s_cbranch_execz .LBB0_23
; %bb.1:
	s_load_dwordx4 s[8:11], s[4:5], 0x18
	s_load_dwordx2 s[12:13], s[4:5], 0x0
	v_mov_b32_e32 v2, 63
	v_mul_lo_u16_sdwa v1, v1, v2 dst_sel:DWORD dst_unused:UNUSED_PAD src0_sel:WORD_1 src1_sel:DWORD
	v_sub_u16_e32 v78, v0, v1
	s_waitcnt lgkmcnt(0)
	s_load_dwordx4 s[0:3], s[8:9], 0x0
	v_lshlrev_b32_e32 v77, 3, v78
	v_mov_b32_e32 v17, s13
	s_waitcnt lgkmcnt(0)
	v_mad_u64_u32 v[0:1], s[6:7], s2, v54, 0
	v_mad_u64_u32 v[2:3], s[6:7], s0, v78, 0
	s_load_dwordx2 s[6:7], s[4:5], 0x38
	v_mad_u64_u32 v[4:5], s[2:3], s3, v54, v[1:2]
	v_mad_u64_u32 v[5:6], s[2:3], s1, v78, v[3:4]
	v_mov_b32_e32 v1, v4
	v_lshlrev_b64 v[0:1], 3, v[0:1]
	v_mov_b32_e32 v6, s15
	v_mov_b32_e32 v3, v5
	v_add_co_u32_e32 v4, vcc, s14, v0
	v_addc_co_u32_e32 v5, vcc, v6, v1, vcc
	v_lshlrev_b64 v[0:1], 3, v[2:3]
	s_mul_i32 s2, s1, 0x48
	s_mul_hi_u32 s3, s0, 0x48
	v_add_co_u32_e32 v0, vcc, v4, v0
	s_add_i32 s3, s3, s2
	s_mul_i32 s2, s0, 0x48
	v_addc_co_u32_e32 v1, vcc, v5, v1, vcc
	s_lshl_b64 s[2:3], s[2:3], 3
	global_load_dwordx2 v[3:4], v[0:1], off
	v_mov_b32_e32 v2, s3
	v_add_co_u32_e32 v0, vcc, s2, v0
	v_addc_co_u32_e32 v1, vcc, v1, v2, vcc
	v_add_co_u32_e32 v5, vcc, s2, v0
	v_addc_co_u32_e32 v6, vcc, v1, v2, vcc
	;; [unrolled: 2-line block ×3, first 2 shown]
	global_load_dwordx2 v[63:64], v77, s[12:13]
	global_load_dwordx2 v[61:62], v77, s[12:13] offset:576
	global_load_dwordx2 v[9:10], v[0:1], off
	global_load_dwordx2 v[11:12], v[5:6], off
	;; [unrolled: 1-line block ×3, first 2 shown]
	global_load_dwordx2 v[59:60], v77, s[12:13] offset:1152
	global_load_dwordx2 v[57:58], v77, s[12:13] offset:1728
	v_add_co_u32_e32 v0, vcc, s2, v7
	v_addc_co_u32_e32 v1, vcc, v8, v2, vcc
	global_load_dwordx2 v[5:6], v[0:1], off
	global_load_dwordx2 v[55:56], v77, s[12:13] offset:2304
	v_add_co_u32_e32 v0, vcc, s2, v0
	v_addc_co_u32_e32 v1, vcc, v1, v2, vcc
	global_load_dwordx2 v[7:8], v[0:1], off
	global_load_dwordx2 v[52:53], v77, s[12:13] offset:2880
	v_add_co_u32_e32 v0, vcc, s2, v0
	v_addc_co_u32_e32 v1, vcc, v1, v2, vcc
	global_load_dwordx2 v[50:51], v77, s[12:13] offset:3456
	global_load_dwordx2 v[15:16], v[0:1], off
	v_add_co_u32_e32 v48, vcc, s12, v77
	v_addc_co_u32_e32 v49, vcc, 0, v17, vcc
	s_load_dwordx4 s[8:11], s[10:11], 0x0
	v_add_u32_e32 v2, 0x800, v77
	v_cmp_gt_u16_e32 vcc, 9, v78
	s_waitcnt vmcnt(12)
	v_mul_f32_e32 v17, v4, v64
	v_mul_f32_e32 v18, v3, v64
	v_fmac_f32_e32 v17, v3, v63
	v_fma_f32 v18, v4, v63, -v18
	s_waitcnt vmcnt(10)
	v_mul_f32_e32 v3, v10, v62
	v_mul_f32_e32 v4, v9, v62
	v_fmac_f32_e32 v3, v9, v61
	v_fma_f32 v4, v10, v61, -v4
	s_waitcnt vmcnt(7)
	v_mul_f32_e32 v9, v12, v60
	v_mul_f32_e32 v10, v11, v60
	ds_write2_b64 v77, v[17:18], v[3:4] offset1:72
	s_waitcnt vmcnt(6)
	v_mul_f32_e32 v3, v14, v58
	v_mul_f32_e32 v4, v13, v58
	v_fmac_f32_e32 v9, v11, v59
	v_fma_f32 v10, v12, v59, -v10
	v_fmac_f32_e32 v3, v13, v57
	v_fma_f32 v4, v14, v57, -v4
	s_waitcnt vmcnt(4)
	v_mul_f32_e32 v11, v6, v56
	v_mul_f32_e32 v12, v5, v56
	ds_write2_b64 v77, v[9:10], v[3:4] offset0:144 offset1:216
	v_fmac_f32_e32 v11, v5, v55
	v_fma_f32 v12, v6, v55, -v12
	s_waitcnt vmcnt(2)
	v_mul_f32_e32 v3, v8, v53
	v_mul_f32_e32 v4, v7, v53
	s_waitcnt vmcnt(0)
	v_mul_f32_e32 v5, v16, v51
	v_mul_f32_e32 v6, v15, v51
	v_fmac_f32_e32 v3, v7, v52
	v_fma_f32 v4, v8, v52, -v4
	v_fmac_f32_e32 v5, v15, v50
	v_fma_f32 v6, v16, v50, -v6
	ds_write2_b64 v2, v[11:12], v[3:4] offset0:32 offset1:104
	ds_write_b64 v77, v[5:6] offset:3456
	s_and_saveexec_b64 s[14:15], vcc
	s_cbranch_execz .LBB0_3
; %bb.2:
	v_mov_b32_e32 v3, 0xfffff478
	v_mad_u64_u32 v[0:1], s[16:17], s0, v3, v[0:1]
	s_mulk_i32 s1, 0xf478
	s_sub_i32 s0, s1, s0
	v_add_u32_e32 v1, s0, v1
	global_load_dwordx2 v[3:4], v[0:1], off
	v_mov_b32_e32 v27, s3
	v_add_co_u32_e64 v0, s[0:1], s2, v0
	v_addc_co_u32_e64 v1, s[0:1], v1, v27, s[0:1]
	global_load_dwordx2 v[5:6], v[0:1], off
	global_load_dwordx2 v[7:8], v[48:49], off offset:504
	global_load_dwordx2 v[9:10], v[48:49], off offset:1080
	v_add_co_u32_e64 v0, s[0:1], s2, v0
	v_addc_co_u32_e64 v1, s[0:1], v1, v27, s[0:1]
	global_load_dwordx2 v[11:12], v[0:1], off
	v_add_co_u32_e64 v0, s[0:1], s2, v0
	v_addc_co_u32_e64 v1, s[0:1], v1, v27, s[0:1]
	global_load_dwordx2 v[13:14], v[0:1], off
	global_load_dwordx2 v[15:16], v[48:49], off offset:1656
	global_load_dwordx2 v[17:18], v[48:49], off offset:2232
	v_add_co_u32_e64 v0, s[0:1], s2, v0
	v_addc_co_u32_e64 v1, s[0:1], v1, v27, s[0:1]
	global_load_dwordx2 v[19:20], v[0:1], off
	global_load_dwordx2 v[21:22], v[48:49], off offset:2808
	v_add_co_u32_e64 v0, s[0:1], s2, v0
	v_addc_co_u32_e64 v1, s[0:1], v1, v27, s[0:1]
	global_load_dwordx2 v[23:24], v[0:1], off
	global_load_dwordx2 v[25:26], v[48:49], off offset:3384
	v_add_co_u32_e64 v0, s[0:1], s2, v0
	v_addc_co_u32_e64 v1, s[0:1], v1, v27, s[0:1]
	global_load_dwordx2 v[27:28], v[48:49], off offset:3960
	global_load_dwordx2 v[29:30], v[0:1], off
	v_add_u32_e32 v31, 0x400, v77
	s_waitcnt vmcnt(11)
	v_mul_f32_e32 v0, v4, v8
	v_mul_f32_e32 v1, v3, v8
	v_fmac_f32_e32 v0, v3, v7
	v_fma_f32 v1, v4, v7, -v1
	s_waitcnt vmcnt(10)
	v_mul_f32_e32 v3, v6, v10
	v_mul_f32_e32 v4, v5, v10
	v_fmac_f32_e32 v3, v5, v9
	v_fma_f32 v4, v6, v9, -v4
	ds_write2_b64 v77, v[0:1], v[3:4] offset0:63 offset1:135
	s_waitcnt vmcnt(7)
	v_mul_f32_e32 v5, v12, v16
	v_mul_f32_e32 v6, v11, v16
	s_waitcnt vmcnt(6)
	v_mul_f32_e32 v0, v14, v18
	v_mul_f32_e32 v1, v13, v18
	v_fmac_f32_e32 v5, v11, v15
	v_fma_f32 v6, v12, v15, -v6
	v_fmac_f32_e32 v0, v13, v17
	v_fma_f32 v1, v14, v17, -v1
	s_waitcnt vmcnt(4)
	v_mul_f32_e32 v3, v20, v22
	v_mul_f32_e32 v4, v19, v22
	ds_write2_b64 v31, v[5:6], v[0:1] offset0:79 offset1:151
	s_waitcnt vmcnt(2)
	v_mul_f32_e32 v0, v24, v26
	v_mul_f32_e32 v1, v23, v26
	v_fmac_f32_e32 v3, v19, v21
	v_fma_f32 v4, v20, v21, -v4
	v_fmac_f32_e32 v0, v23, v25
	s_waitcnt vmcnt(0)
	v_mul_f32_e32 v5, v30, v28
	v_mul_f32_e32 v6, v29, v28
	v_fma_f32 v1, v24, v25, -v1
	v_fmac_f32_e32 v5, v29, v27
	v_fma_f32 v6, v30, v27, -v6
	ds_write2_b64 v2, v[3:4], v[0:1] offset0:95 offset1:167
	ds_write_b64 v77, v[5:6] offset:3960
.LBB0_3:
	s_or_b64 exec, exec, s[14:15]
	s_waitcnt lgkmcnt(0)
	; wave barrier
	s_waitcnt lgkmcnt(0)
	ds_read2_b64 v[12:15], v77 offset1:72
	ds_read2_b64 v[16:19], v77 offset0:144 offset1:216
	ds_read2_b64 v[20:23], v2 offset0:32 offset1:104
	ds_read_b64 v[24:25], v77 offset:3456
	v_mov_b32_e32 v2, 0
	v_mov_b32_e32 v3, 0
	;; [unrolled: 1-line block ×8, first 2 shown]
                                        ; implicit-def: $vgpr34
	s_and_saveexec_b64 s[0:1], vcc
	s_cbranch_execz .LBB0_5
; %bb.4:
	v_add_u32_e32 v4, 0x400, v77
	v_add_u32_e32 v8, 0x800, v77
	ds_read2_b64 v[0:3], v77 offset0:63 offset1:135
	ds_read2_b64 v[4:7], v4 offset0:79 offset1:151
	;; [unrolled: 1-line block ×3, first 2 shown]
	ds_read_b64 v[34:35], v77 offset:3960
.LBB0_5:
	s_or_b64 exec, exec, s[0:1]
	s_waitcnt lgkmcnt(0)
	v_add_f32_e32 v26, v14, v24
	v_sub_f32_e32 v14, v14, v24
	v_add_f32_e32 v24, v16, v22
	v_add_f32_e32 v27, v15, v25
	v_sub_f32_e32 v15, v15, v25
	v_add_f32_e32 v25, v17, v23
	v_sub_f32_e32 v16, v16, v22
	;; [unrolled: 2-line block ×6, first 2 shown]
	v_sub_f32_e32 v30, v22, v24
	v_add_f32_e32 v24, v18, v16
	v_add_f32_e32 v20, v22, v20
	v_sub_f32_e32 v29, v25, v27
	v_sub_f32_e32 v31, v23, v25
	v_add_f32_e32 v25, v19, v17
	v_sub_f32_e32 v32, v18, v16
	v_sub_f32_e32 v33, v19, v17
	;; [unrolled: 1-line block ×4, first 2 shown]
	v_add_f32_e32 v21, v23, v21
	v_add_f32_e32 v14, v24, v14
	;; [unrolled: 1-line block ×3, first 2 shown]
	v_add_co_u32_e64 v42, s[0:1], 63, v78
	v_sub_f32_e32 v26, v26, v22
	v_sub_f32_e32 v19, v15, v19
	;; [unrolled: 1-line block ×3, first 2 shown]
	v_add_f32_e32 v15, v25, v15
	v_add_f32_e32 v25, v13, v21
	v_mul_f32_e32 v40, 0xbf08b237, v32
	v_mul_f32_e32 v32, 0xbf08b237, v33
	v_mov_b32_e32 v33, v24
	s_load_dwordx2 s[2:3], s[4:5], 0x8
	v_sub_f32_e32 v27, v27, v23
	v_mul_f32_e32 v12, 0x3f4a47b2, v26
	v_mul_f32_e32 v22, 0x3d64c772, v30
	;; [unrolled: 1-line block ×3, first 2 shown]
	s_mov_b32 s0, 0x3f5ff5aa
	v_fmac_f32_e32 v33, 0xbf955555, v20
	v_mov_b32_e32 v20, v25
	s_mov_b32 s1, 0x3f3bfb3b
	s_mov_b32 s4, 0xbf3bfb3b
	v_mul_f32_e32 v13, 0x3f4a47b2, v27
	v_mul_f32_e32 v26, 0x3f5ff5aa, v16
	;; [unrolled: 1-line block ×3, first 2 shown]
	v_fmac_f32_e32 v20, 0xbf955555, v21
	v_fma_f32 v21, v28, s1, -v22
	v_fma_f32 v22, v29, s1, -v23
	v_fma_f32 v23, v28, s4, -v12
	v_fmac_f32_e32 v12, 0x3d64c772, v30
	v_fma_f32 v17, v17, s0, -v32
	v_fmac_f32_e32 v32, 0x3eae86e6, v19
	s_mov_b32 s5, 0xbeae86e6
	v_fma_f32 v28, v29, s4, -v13
	v_fmac_f32_e32 v13, 0x3d64c772, v31
	v_fma_f32 v16, v16, s0, -v40
	v_fmac_f32_e32 v40, 0x3eae86e6, v18
	v_fma_f32 v18, v18, s5, -v26
	v_add_f32_e32 v12, v12, v33
	v_fmac_f32_e32 v32, 0x3ee1c552, v15
	v_fma_f32 v19, v19, s5, -v27
	v_add_f32_e32 v13, v13, v20
	v_fmac_f32_e32 v40, 0x3ee1c552, v14
	v_fmac_f32_e32 v16, 0x3ee1c552, v14
	v_fmac_f32_e32 v18, 0x3ee1c552, v14
	v_add_f32_e32 v26, v12, v32
	v_sub_f32_e32 v32, v12, v32
	v_add_f32_e32 v12, v34, v2
	v_add_f32_e32 v14, v10, v4
	;; [unrolled: 1-line block ×4, first 2 shown]
	v_fmac_f32_e32 v17, 0x3ee1c552, v15
	v_fmac_f32_e32 v19, 0x3ee1c552, v15
	v_sub_f32_e32 v27, v13, v40
	v_add_f32_e32 v33, v40, v13
	v_add_f32_e32 v13, v35, v3
	;; [unrolled: 1-line block ×3, first 2 shown]
	v_sub_f32_e32 v4, v4, v10
	v_add_f32_e32 v10, v6, v8
	v_sub_f32_e32 v6, v8, v6
	v_add_f32_e32 v8, v12, v14
	v_add_f32_e32 v22, v22, v20
	;; [unrolled: 1-line block ×3, first 2 shown]
	v_sub_f32_e32 v3, v3, v35
	v_sub_f32_e32 v5, v5, v11
	v_add_f32_e32 v11, v7, v9
	v_sub_f32_e32 v7, v9, v7
	v_add_f32_e32 v9, v13, v15
	v_add_f32_e32 v8, v8, v10
	;; [unrolled: 1-line block ×3, first 2 shown]
	v_sub_f32_e32 v29, v20, v18
	v_sub_f32_e32 v30, v21, v17
	v_add_f32_e32 v31, v16, v22
	v_add_f32_e32 v36, v17, v21
	v_sub_f32_e32 v37, v22, v16
	v_sub_f32_e32 v38, v23, v19
	v_add_f32_e32 v39, v18, v20
	v_sub_f32_e32 v2, v2, v34
	v_sub_f32_e32 v16, v14, v12
	;; [unrolled: 1-line block ×6, first 2 shown]
	v_add_f32_e32 v19, v5, v7
	v_sub_f32_e32 v20, v6, v4
	v_sub_f32_e32 v21, v7, v5
	;; [unrolled: 1-line block ×3, first 2 shown]
	v_add_f32_e32 v9, v9, v11
	v_add_f32_e32 v34, v8, v0
	v_sub_f32_e32 v13, v13, v11
	v_add_f32_e32 v18, v4, v6
	v_sub_f32_e32 v7, v3, v7
	v_sub_f32_e32 v4, v4, v2
	v_add_f32_e32 v3, v3, v19
	v_add_f32_e32 v35, v9, v1
	v_mul_f32_e32 v0, 0x3f4a47b2, v12
	v_mul_f32_e32 v10, 0x3d64c772, v14
	;; [unrolled: 1-line block ×6, first 2 shown]
	v_mov_b32_e32 v20, v34
	v_sub_f32_e32 v6, v2, v6
	v_add_f32_e32 v2, v2, v18
	v_mul_f32_e32 v1, 0x3f4a47b2, v13
	v_mul_f32_e32 v18, 0x3f5ff5aa, v4
	v_fmac_f32_e32 v20, 0xbf955555, v8
	v_mov_b32_e32 v8, v35
	v_fma_f32 v0, v16, s4, -v0
	v_fma_f32 v5, v5, s0, -v15
	v_fmac_f32_e32 v15, 0x3eae86e6, v7
	v_fma_f32 v7, v7, s5, -v19
	v_fmac_f32_e32 v8, 0xbf955555, v9
	;; [unrolled: 2-line block ×4, first 2 shown]
	v_fma_f32 v1, v17, s4, -v1
	v_fma_f32 v4, v4, s0, -v14
	v_fmac_f32_e32 v14, 0x3eae86e6, v6
	v_fma_f32 v6, v6, s5, -v18
	v_add_f32_e32 v0, v0, v20
	v_fmac_f32_e32 v7, 0x3ee1c552, v3
	v_add_f32_e32 v10, v10, v20
	v_add_f32_e32 v11, v11, v8
	;; [unrolled: 1-line block ×5, first 2 shown]
	v_fmac_f32_e32 v14, 0x3ee1c552, v2
	v_fmac_f32_e32 v15, 0x3ee1c552, v3
	;; [unrolled: 1-line block ×5, first 2 shown]
	v_add_f32_e32 v16, v0, v7
	v_sub_f32_e32 v22, v0, v7
	v_mul_lo_u16_e32 v0, 7, v78
	v_add_f32_e32 v40, v10, v15
	v_sub_f32_e32 v41, v11, v14
	v_sub_f32_e32 v17, v1, v6
	;; [unrolled: 1-line block ×3, first 2 shown]
	v_add_f32_e32 v19, v4, v12
	v_add_f32_e32 v20, v9, v5
	v_sub_f32_e32 v21, v12, v4
	v_add_f32_e32 v23, v6, v1
	v_sub_f32_e32 v65, v10, v15
	v_add_f32_e32 v66, v14, v11
	v_lshlrev_b32_e32 v81, 3, v0
	v_mul_u32_u24_e32 v80, 7, v42
	s_waitcnt lgkmcnt(0)
	; wave barrier
	s_waitcnt lgkmcnt(0)
	ds_write2_b64 v81, v[24:25], v[26:27] offset1:1
	ds_write2_b64 v81, v[28:29], v[30:31] offset0:2 offset1:3
	ds_write2_b64 v81, v[36:37], v[38:39] offset0:4 offset1:5
	ds_write_b64 v81, v[32:33] offset:48
	s_and_saveexec_b64 s[0:1], vcc
	s_cbranch_execz .LBB0_7
; %bb.6:
	v_lshlrev_b32_e32 v0, 3, v80
	ds_write2_b64 v0, v[34:35], v[40:41] offset1:1
	ds_write2_b64 v0, v[16:17], v[18:19] offset0:2 offset1:3
	ds_write2_b64 v0, v[20:21], v[22:23] offset0:4 offset1:5
	ds_write_b64 v0, v[65:66] offset:48
.LBB0_7:
	s_or_b64 exec, exec, s[0:1]
	v_cmp_gt_u16_e64 s[0:1], 56, v78
	s_waitcnt lgkmcnt(0)
	; wave barrier
	s_waitcnt lgkmcnt(0)
	s_and_saveexec_b64 s[4:5], s[0:1]
	s_cbranch_execz .LBB0_9
; %bb.8:
	v_add_u32_e32 v1, 0x800, v77
	ds_read2_b64 v[24:27], v77 offset1:56
	ds_read2_b64 v[28:31], v77 offset0:112 offset1:168
	v_add_u32_e32 v0, 0x400, v77
	ds_read2_b64 v[32:35], v1 offset0:80 offset1:136
	ds_read2_b64 v[36:39], v0 offset0:96 offset1:152
	ds_read_b64 v[40:41], v77 offset:3584
.LBB0_9:
	s_or_b64 exec, exec, s[4:5]
	v_mov_b32_e32 v0, 37
	v_mul_lo_u16_sdwa v0, v78, v0 dst_sel:DWORD dst_unused:UNUSED_PAD src0_sel:BYTE_0 src1_sel:DWORD
	v_sub_u16_sdwa v1, v78, v0 dst_sel:DWORD dst_unused:UNUSED_PAD src0_sel:DWORD src1_sel:BYTE_1
	v_lshrrev_b16_e32 v1, 1, v1
	v_and_b32_e32 v1, 0x7f, v1
	v_add_u16_sdwa v0, v1, v0 dst_sel:DWORD dst_unused:UNUSED_PAD src0_sel:DWORD src1_sel:BYTE_1
	v_lshrrev_b16_e32 v69, 2, v0
	v_mul_lo_u16_e32 v0, 7, v69
	v_sub_u16_e32 v0, v78, v0
	v_and_b32_e32 v79, 0xff, v0
	v_lshlrev_b32_e32 v42, 6, v79
	global_load_dwordx4 v[0:3], v42, s[2:3] offset:48
	global_load_dwordx4 v[12:15], v42, s[2:3] offset:32
	;; [unrolled: 1-line block ×3, first 2 shown]
	global_load_dwordx4 v[4:7], v42, s[2:3]
	v_mul_u32_u24_e32 v82, 63, v69
	s_waitcnt lgkmcnt(0)
	; wave barrier
	s_waitcnt vmcnt(3) lgkmcnt(0)
	v_mul_f32_e32 v68, v34, v1
	s_waitcnt vmcnt(2)
	v_mul_f32_e32 v45, v38, v13
	s_waitcnt vmcnt(1)
	;; [unrolled: 2-line block ×3, first 2 shown]
	v_mul_f32_e32 v42, v27, v5
	v_fma_f32 v46, v26, v4, -v42
	v_mul_f32_e32 v26, v26, v5
	v_fmac_f32_e32 v26, v27, v4
	v_mul_f32_e32 v27, v29, v7
	v_fma_f32 v27, v28, v6, -v27
	v_mul_f32_e32 v47, v28, v7
	v_mul_f32_e32 v28, v31, v9
	v_fma_f32 v67, v30, v8, -v28
	v_mul_f32_e32 v28, v37, v11
	v_fma_f32 v42, v36, v10, -v28
	v_mul_f32_e32 v28, v39, v13
	v_mul_f32_e32 v30, v30, v9
	v_fma_f32 v43, v38, v12, -v28
	v_mul_f32_e32 v28, v33, v15
	v_fmac_f32_e32 v30, v31, v8
	v_fma_f32 v31, v32, v14, -v28
	v_mul_f32_e32 v28, v35, v1
	v_mul_f32_e32 v38, v32, v15
	v_fma_f32 v32, v34, v0, -v28
	v_mul_f32_e32 v28, v41, v3
	v_mul_f32_e32 v36, v40, v3
	v_fmac_f32_e32 v38, v33, v14
	v_fma_f32 v33, v40, v2, -v28
	v_fmac_f32_e32 v36, v41, v2
	v_fmac_f32_e32 v47, v29, v6
	;; [unrolled: 1-line block ×4, first 2 shown]
	v_add_f32_e32 v29, v46, v33
	v_add_f32_e32 v35, v26, v36
	;; [unrolled: 1-line block ×3, first 2 shown]
	v_sub_f32_e32 v37, v46, v33
	v_sub_f32_e32 v33, v26, v36
	;; [unrolled: 1-line block ×3, first 2 shown]
	v_mov_b32_e32 v26, v24
	v_mov_b32_e32 v27, v25
	v_fmac_f32_e32 v45, v39, v12
	v_add_f32_e32 v34, v47, v68
	v_add_f32_e32 v39, v67, v31
	;; [unrolled: 1-line block ×3, first 2 shown]
	v_sub_f32_e32 v32, v47, v68
	v_sub_f32_e32 v46, v67, v31
	;; [unrolled: 1-line block ×3, first 2 shown]
	v_mul_f32_e32 v31, 0x3f248dbb, v37
	v_mul_f32_e32 v30, 0x3f248dbb, v33
	v_fmac_f32_e32 v26, 0x3f441b7d, v29
	v_fmac_f32_e32 v27, 0x3f441b7d, v35
	;; [unrolled: 1-line block ×8, first 2 shown]
	v_sub_f32_e32 v40, v42, v43
	v_sub_f32_e32 v38, v44, v45
	v_fmac_f32_e32 v26, -0.5, v39
	v_fmac_f32_e32 v27, -0.5, v41
	v_add_f32_e32 v67, v42, v43
	v_add_f32_e32 v68, v44, v45
	v_fmac_f32_e32 v31, 0x3eaf1d44, v40
	v_fmac_f32_e32 v30, 0x3eaf1d44, v38
	;; [unrolled: 1-line block ×4, first 2 shown]
	v_add_f32_e32 v26, v30, v26
	v_sub_f32_e32 v27, v27, v31
	v_fma_f32 v30, -2.0, v30, v26
	v_fma_f32 v31, 2.0, v31, v27
	s_and_saveexec_b64 s[4:5], s[0:1]
	s_cbranch_execz .LBB0_11
; %bb.10:
	v_add_f32_e32 v71, v34, v35
	v_add_f32_e32 v72, v41, v71
	v_mul_f32_e32 v74, 0x3f5db3d7, v47
	v_mov_b32_e32 v47, v25
	v_add_f32_e32 v44, v44, v72
	v_mul_f32_e32 v73, 0x3f5db3d7, v46
	v_mul_f32_e32 v46, 0x3f7c1c5c, v40
	s_mov_b32 s14, 0xbf248dbb
	v_fmac_f32_e32 v47, 0x3f441b7d, v34
	v_add_f32_e32 v44, v45, v44
	v_add_f32_e32 v45, v28, v29
	v_mul_f32_e32 v76, 0.5, v41
	v_fma_f32 v46, v36, s14, -v46
	v_fmac_f32_e32 v47, 0x3e31d0d4, v68
	v_add_f32_e32 v72, v39, v45
	v_add_f32_e32 v46, v73, v46
	v_sub_f32_e32 v47, v47, v76
	v_add_f32_e32 v42, v42, v72
	v_fmac_f32_e32 v46, 0x3eaf1d44, v37
	v_fmac_f32_e32 v47, 0xbf708fb2, v35
	v_add_f32_e32 v42, v43, v42
	v_sub_f32_e32 v47, v47, v46
	v_add_f32_e32 v43, v24, v42
	v_add_f32_e32 v42, v40, v37
	v_fma_f32 v70, 2.0, v46, v47
	v_mul_f32_e32 v46, 0x3f7c1c5c, v38
	v_sub_f32_e32 v72, v42, v36
	v_add_f32_e32 v42, v25, v41
	v_add_f32_e32 v41, v68, v71
	v_fma_f32 v46, v32, s14, -v46
	v_add_f32_e32 v44, v25, v44
	v_fmac_f32_e32 v42, -0.5, v41
	v_add_f32_e32 v41, v38, v33
	v_fmac_f32_e32 v25, 0x3f441b7d, v68
	v_mul_f32_e32 v75, 0.5, v39
	v_add_f32_e32 v69, v74, v46
	v_mov_b32_e32 v46, v24
	v_sub_f32_e32 v71, v41, v32
	v_add_f32_e32 v41, v24, v39
	v_add_f32_e32 v39, v67, v45
	v_fmac_f32_e32 v25, 0x3e31d0d4, v35
	v_mul_f32_e32 v35, 0xbf248dbb, v38
	v_fmac_f32_e32 v24, 0x3f441b7d, v67
	v_fmac_f32_e32 v46, 0x3f441b7d, v28
	v_fmac_f32_e32 v41, -0.5, v39
	v_mul_f32_e32 v39, 0xbf248dbb, v40
	v_fmac_f32_e32 v35, 0x3f7c1c5c, v33
	v_fmac_f32_e32 v24, 0x3e31d0d4, v29
	;; [unrolled: 1-line block ×4, first 2 shown]
	v_sub_f32_e32 v35, v35, v74
	v_sub_f32_e32 v24, v24, v75
	;; [unrolled: 1-line block ×5, first 2 shown]
	v_fmac_f32_e32 v35, 0x3eaf1d44, v32
	v_fmac_f32_e32 v24, 0xbf708fb2, v28
	v_fmac_f32_e32 v69, 0x3eaf1d44, v33
	v_fmac_f32_e32 v46, 0xbf708fb2, v29
	v_mul_f32_e32 v83, 0x3f5db3d7, v72
	v_fmac_f32_e32 v42, 0xbf5db3d7, v72
	v_fmac_f32_e32 v37, 0x3eaf1d44, v36
	v_fmac_f32_e32 v25, 0xbf708fb2, v34
	v_add_f32_e32 v24, v35, v24
	v_add_f32_e32 v46, v69, v46
	v_fma_f32 v72, 2.0, v83, v42
	v_mul_f32_e32 v83, 0x3f5db3d7, v71
	v_fmac_f32_e32 v41, 0x3f5db3d7, v71
	v_sub_f32_e32 v25, v25, v37
	v_add_lshl_u32 v28, v82, v79, 3
	v_mov_b32_e32 v33, v24
	v_fma_f32 v69, -2.0, v69, v46
	v_fma_f32 v71, -2.0, v83, v41
	v_fma_f32 v34, 2.0, v37, v25
	ds_write2_b64 v28, v[43:44], v[26:27] offset1:7
	v_fmac_f32_e32 v33, -2.0, v35
	ds_write2_b64 v28, v[24:25], v[41:42] offset0:14 offset1:21
	ds_write2_b64 v28, v[46:47], v[69:70] offset0:28 offset1:35
	;; [unrolled: 1-line block ×3, first 2 shown]
	ds_write_b64 v28, v[30:31] offset:448
.LBB0_11:
	s_or_b64 exec, exec, s[4:5]
	v_mad_u64_u32 v[28:29], s[2:3], v78, 24, s[2:3]
	s_waitcnt lgkmcnt(0)
	; wave barrier
	s_waitcnt lgkmcnt(0)
	global_load_dwordx4 v[24:27], v[28:29], off offset:448
	global_load_dwordx2 v[67:68], v[28:29], off offset:464
	v_add_u32_e32 v32, 0x400, v77
	ds_read2_b64 v[33:36], v77 offset1:63
	ds_read2_b64 v[41:44], v77 offset0:126 offset1:189
	v_add_u32_e32 v40, 0x800, v77
	ds_read2_b64 v[69:72], v32 offset0:124 offset1:187
	ds_read2_b64 v[73:76], v40 offset0:122 offset1:185
	v_lshlrev_b32_e32 v37, 4, v78
	v_sub_co_u32_e64 v28, s[2:3], v28, v37
	v_subbrev_co_u32_e64 v29, s[2:3], 0, v29, s[2:3]
	s_waitcnt lgkmcnt(0)
	; wave barrier
	s_waitcnt lgkmcnt(0)
	s_add_u32 s2, s12, 0xfc0
	s_addc_u32 s3, s13, 0
	s_waitcnt vmcnt(1)
	v_mul_f32_e32 v37, v42, v25
	v_mul_f32_e32 v38, v41, v25
	;; [unrolled: 1-line block ×4, first 2 shown]
	s_waitcnt vmcnt(0)
	v_mul_f32_e32 v46, v74, v68
	v_mul_f32_e32 v47, v73, v68
	;; [unrolled: 1-line block ×8, first 2 shown]
	v_fma_f32 v37, v41, v24, -v37
	v_fmac_f32_e32 v38, v42, v24
	v_fma_f32 v39, v69, v26, -v39
	v_fmac_f32_e32 v45, v70, v26
	;; [unrolled: 2-line block ×6, first 2 shown]
	v_sub_f32_e32 v39, v33, v39
	v_sub_f32_e32 v45, v34, v45
	;; [unrolled: 1-line block ×8, first 2 shown]
	v_fma_f32 v70, v33, 2.0, -v39
	v_fma_f32 v71, v34, 2.0, -v45
	;; [unrolled: 1-line block ×4, first 2 shown]
	v_sub_f32_e32 v33, v39, v46
	v_fma_f32 v72, v35, 2.0, -v47
	v_fma_f32 v73, v36, 2.0, -v69
	;; [unrolled: 1-line block ×4, first 2 shown]
	v_add_f32_e32 v34, v45, v41
	v_sub_f32_e32 v35, v47, v44
	v_add_f32_e32 v36, v69, v43
	v_sub_f32_e32 v37, v70, v37
	v_sub_f32_e32 v38, v71, v38
	;; [unrolled: 1-line block ×4, first 2 shown]
	v_fma_f32 v41, v39, 2.0, -v33
	v_fma_f32 v42, v45, 2.0, -v34
	;; [unrolled: 1-line block ×8, first 2 shown]
	ds_write2_b64 v77, v[69:70], v[41:42] offset1:63
	ds_write2_b64 v77, v[37:38], v[33:34] offset0:126 offset1:189
	ds_write2_b64 v32, v[71:72], v[45:46] offset0:124 offset1:187
	;; [unrolled: 1-line block ×3, first 2 shown]
	s_waitcnt lgkmcnt(0)
	; wave barrier
	s_waitcnt lgkmcnt(0)
	global_load_dwordx2 v[69:70], v[28:29], off offset:1960
	global_load_dwordx2 v[71:72], v[28:29], off offset:2464
	;; [unrolled: 1-line block ×4, first 2 shown]
	ds_read2_b64 v[33:36], v32 offset0:124 offset1:187
	ds_read2_b64 v[41:44], v77 offset1:63
	ds_read2_b64 v[83:86], v77 offset0:126 offset1:189
	ds_read2_b64 v[87:90], v40 offset0:122 offset1:185
	s_waitcnt vmcnt(3) lgkmcnt(3)
	v_mul_f32_e32 v28, v34, v70
	v_mul_f32_e32 v29, v33, v70
	s_waitcnt vmcnt(2)
	v_mul_f32_e32 v37, v36, v72
	v_mul_f32_e32 v38, v35, v72
	s_waitcnt vmcnt(1) lgkmcnt(0)
	v_mul_f32_e32 v39, v88, v74
	v_mul_f32_e32 v45, v87, v74
	s_waitcnt vmcnt(0)
	v_mul_f32_e32 v46, v90, v76
	v_mul_f32_e32 v47, v89, v76
	v_fma_f32 v28, v33, v69, -v28
	v_fmac_f32_e32 v29, v34, v69
	v_fma_f32 v35, v35, v71, -v37
	v_fmac_f32_e32 v38, v36, v71
	v_fma_f32 v37, v87, v73, -v39
	v_fmac_f32_e32 v45, v88, v73
	v_fma_f32 v39, v89, v75, -v46
	v_fmac_f32_e32 v47, v90, v75
	v_sub_f32_e32 v33, v41, v28
	v_sub_f32_e32 v34, v42, v29
	;; [unrolled: 1-line block ×8, first 2 shown]
	v_fma_f32 v41, v41, 2.0, -v33
	v_fma_f32 v42, v42, 2.0, -v34
	;; [unrolled: 1-line block ×8, first 2 shown]
	ds_write_b64 v77, v[33:34] offset:2016
	ds_write2_b64 v77, v[41:42], v[43:44] offset1:63
	ds_write2_b64 v40, v[35:36], v[37:38] offset0:59 offset1:122
	ds_write2_b64 v77, v[45:46], v[83:84] offset0:126 offset1:189
	ds_write_b64 v77, v[28:29] offset:3528
	s_waitcnt lgkmcnt(0)
	; wave barrier
	s_waitcnt lgkmcnt(0)
	global_load_dwordx2 v[37:38], v[48:49], off offset:4032
	global_load_dwordx2 v[41:42], v77, s[2:3] offset:576
	global_load_dwordx2 v[45:46], v77, s[2:3] offset:1152
	global_load_dwordx2 v[83:84], v77, s[2:3] offset:1728
	global_load_dwordx2 v[85:86], v77, s[2:3] offset:2304
	global_load_dwordx2 v[87:88], v77, s[2:3] offset:2880
	global_load_dwordx2 v[89:90], v77, s[2:3] offset:3456
	ds_read2_b64 v[33:36], v77 offset1:72
	s_waitcnt vmcnt(5) lgkmcnt(0)
	v_mul_f32_e32 v47, v36, v42
	v_mul_f32_e32 v43, v35, v42
	v_fma_f32 v42, v35, v41, -v47
	v_fmac_f32_e32 v43, v36, v41
	v_mul_f32_e32 v44, v34, v38
	v_mul_f32_e32 v39, v33, v38
	v_fma_f32 v38, v33, v37, -v44
	v_fmac_f32_e32 v39, v34, v37
	ds_write2_b64 v77, v[38:39], v[42:43] offset1:72
	ds_read2_b64 v[33:36], v77 offset0:144 offset1:216
	ds_read2_b64 v[41:44], v40 offset0:32 offset1:104
	ds_read_b64 v[37:38], v77 offset:3456
	s_waitcnt vmcnt(4) lgkmcnt(2)
	v_mul_f32_e32 v39, v34, v46
	v_mul_f32_e32 v47, v33, v46
	s_waitcnt vmcnt(3)
	v_mul_f32_e32 v92, v36, v84
	v_mul_f32_e32 v91, v35, v84
	s_waitcnt vmcnt(2) lgkmcnt(1)
	v_mul_f32_e32 v93, v42, v86
	v_mul_f32_e32 v84, v41, v86
	s_waitcnt vmcnt(1)
	v_mul_f32_e32 v94, v44, v88
	v_mul_f32_e32 v86, v43, v88
	s_waitcnt vmcnt(0) lgkmcnt(0)
	v_mul_f32_e32 v95, v38, v90
	v_mul_f32_e32 v88, v37, v90
	v_fma_f32 v46, v33, v45, -v39
	v_fmac_f32_e32 v47, v34, v45
	v_fma_f32 v90, v35, v83, -v92
	v_fmac_f32_e32 v91, v36, v83
	;; [unrolled: 2-line block ×5, first 2 shown]
	ds_write2_b64 v77, v[46:47], v[90:91] offset0:144 offset1:216
	ds_write2_b64 v40, v[83:84], v[85:86] offset0:32 offset1:104
	ds_write_b64 v77, v[87:88] offset:3456
	s_and_saveexec_b64 s[4:5], vcc
	s_cbranch_execz .LBB0_13
; %bb.12:
	v_mov_b32_e32 v34, s3
	v_add_co_u32_e64 v33, s[2:3], s2, v77
	v_addc_co_u32_e64 v34, s[2:3], 0, v34, s[2:3]
	global_load_dwordx2 v[37:38], v[33:34], off offset:504
	global_load_dwordx2 v[45:46], v[33:34], off offset:1080
	;; [unrolled: 1-line block ×7, first 2 shown]
	ds_read2_b64 v[33:36], v77 offset0:63 offset1:135
	ds_read2_b64 v[41:44], v32 offset0:79 offset1:151
	;; [unrolled: 1-line block ×3, first 2 shown]
	ds_read_b64 v[97:98], v77 offset:3960
	s_waitcnt vmcnt(6) lgkmcnt(3)
	v_mul_f32_e32 v99, v34, v38
	v_mul_f32_e32 v39, v33, v38
	s_waitcnt vmcnt(5)
	v_mul_f32_e32 v101, v36, v46
	v_mul_f32_e32 v47, v35, v46
	s_waitcnt vmcnt(4) lgkmcnt(2)
	v_mul_f32_e32 v102, v42, v88
	v_mul_f32_e32 v100, v41, v88
	s_waitcnt vmcnt(3)
	v_mul_f32_e32 v103, v44, v90
	v_mul_f32_e32 v88, v43, v90
	;; [unrolled: 6-line block ×3, first 2 shown]
	s_waitcnt vmcnt(0) lgkmcnt(0)
	v_mul_f32_e32 v106, v98, v96
	v_mul_f32_e32 v94, v97, v96
	v_fma_f32 v38, v33, v37, -v99
	v_fmac_f32_e32 v39, v34, v37
	v_fma_f32 v46, v35, v45, -v101
	v_fmac_f32_e32 v47, v36, v45
	;; [unrolled: 2-line block ×7, first 2 shown]
	ds_write2_b64 v77, v[38:39], v[46:47] offset0:63 offset1:135
	ds_write2_b64 v32, v[99:100], v[87:88] offset0:79 offset1:151
	;; [unrolled: 1-line block ×3, first 2 shown]
	ds_write_b64 v77, v[93:94] offset:3960
.LBB0_13:
	s_or_b64 exec, exec, s[4:5]
	s_waitcnt lgkmcnt(0)
	; wave barrier
	s_waitcnt lgkmcnt(0)
	ds_read2_b64 v[32:35], v77 offset1:72
	ds_read2_b64 v[36:39], v77 offset0:144 offset1:216
	ds_read2_b64 v[40:43], v40 offset0:32 offset1:104
	ds_read_b64 v[44:45], v77 offset:3456
	s_and_saveexec_b64 s[2:3], vcc
	s_cbranch_execz .LBB0_15
; %bb.14:
	v_add_u32_e32 v16, 0x400, v77
	v_add_u32_e32 v20, 0x800, v77
	ds_read2_b64 v[28:31], v77 offset0:63 offset1:135
	ds_read2_b64 v[16:19], v16 offset0:79 offset1:151
	;; [unrolled: 1-line block ×3, first 2 shown]
	ds_read_b64 v[65:66], v77 offset:3960
.LBB0_15:
	s_or_b64 exec, exec, s[2:3]
	s_waitcnt lgkmcnt(0)
	v_add_f32_e32 v46, v34, v44
	v_sub_f32_e32 v34, v34, v44
	v_add_f32_e32 v44, v36, v42
	v_add_f32_e32 v47, v35, v45
	v_sub_f32_e32 v35, v35, v45
	v_add_f32_e32 v45, v37, v43
	v_sub_f32_e32 v36, v36, v42
	;; [unrolled: 2-line block ×5, first 2 shown]
	v_add_f32_e32 v41, v45, v47
	v_add_f32_e32 v40, v42, v40
	;; [unrolled: 1-line block ×4, first 2 shown]
	v_sub_f32_e32 v83, v44, v46
	v_sub_f32_e32 v84, v45, v47
	;; [unrolled: 1-line block ×6, first 2 shown]
	v_add_f32_e32 v85, v38, v36
	v_add_f32_e32 v86, v39, v37
	v_sub_f32_e32 v87, v38, v36
	v_sub_f32_e32 v88, v39, v37
	;; [unrolled: 1-line block ×4, first 2 shown]
	v_add_f32_e32 v33, v33, v41
	v_mov_b32_e32 v89, v32
	v_sub_f32_e32 v38, v34, v38
	v_sub_f32_e32 v39, v35, v39
	v_add_f32_e32 v34, v85, v34
	v_add_f32_e32 v35, v86, v35
	v_mul_f32_e32 v42, 0x3f4a47b2, v46
	v_mul_f32_e32 v43, 0x3f4a47b2, v47
	;; [unrolled: 1-line block ×6, first 2 shown]
	s_mov_b32 s4, 0xbf5ff5aa
	v_mul_f32_e32 v87, 0xbf5ff5aa, v36
	v_mul_f32_e32 v88, 0xbf5ff5aa, v37
	v_fmac_f32_e32 v89, 0xbf955555, v40
	v_mov_b32_e32 v40, v33
	s_mov_b32 s5, 0x3f3bfb3b
	s_mov_b32 s12, 0xbf3bfb3b
	s_mov_b32 s2, 0x3eae86e6
	v_fmac_f32_e32 v40, 0xbf955555, v41
	v_fma_f32 v41, v83, s5, -v46
	v_fma_f32 v46, v84, s5, -v47
	;; [unrolled: 1-line block ×3, first 2 shown]
	v_fmac_f32_e32 v42, 0x3d64c772, v44
	v_fma_f32 v44, v84, s12, -v43
	v_fmac_f32_e32 v43, 0x3d64c772, v45
	v_fma_f32 v45, v36, s4, -v85
	v_fmac_f32_e32 v85, 0xbeae86e6, v38
	v_fma_f32 v83, v37, s4, -v86
	v_fmac_f32_e32 v86, 0xbeae86e6, v39
	v_fma_f32 v84, v38, s2, -v87
	v_fma_f32 v87, v39, s2, -v88
	v_add_f32_e32 v42, v42, v89
	v_add_f32_e32 v43, v43, v40
	;; [unrolled: 1-line block ×6, first 2 shown]
	v_fmac_f32_e32 v85, 0xbee1c552, v34
	v_fmac_f32_e32 v86, 0xbee1c552, v35
	;; [unrolled: 1-line block ×6, first 2 shown]
	v_add_f32_e32 v34, v42, v86
	v_sub_f32_e32 v35, v43, v85
	v_add_f32_e32 v36, v87, v47
	v_sub_f32_e32 v37, v40, v84
	v_sub_f32_e32 v38, v41, v83
	v_add_f32_e32 v39, v45, v46
	v_add_f32_e32 v44, v83, v41
	v_sub_f32_e32 v45, v46, v45
	v_sub_f32_e32 v46, v47, v87
	v_add_f32_e32 v47, v84, v40
	v_sub_f32_e32 v40, v42, v86
	v_add_f32_e32 v41, v85, v43
	v_add_f32_e32 v42, v65, v30
	;; [unrolled: 1-line block ×3, first 2 shown]
	v_sub_f32_e32 v83, v30, v65
	v_sub_f32_e32 v30, v31, v66
	v_add_f32_e32 v31, v22, v16
	v_add_f32_e32 v65, v23, v17
	v_sub_f32_e32 v66, v16, v22
	v_sub_f32_e32 v22, v17, v23
	v_add_f32_e32 v16, v18, v20
	v_add_f32_e32 v17, v19, v21
	;; [unrolled: 4-line block ×3, first 2 shown]
	v_sub_f32_e32 v23, v42, v16
	v_sub_f32_e32 v88, v43, v17
	v_sub_f32_e32 v84, v16, v31
	v_sub_f32_e32 v85, v17, v65
	v_add_f32_e32 v16, v16, v20
	v_add_f32_e32 v17, v17, v21
	;; [unrolled: 1-line block ×4, first 2 shown]
	v_sub_f32_e32 v86, v18, v66
	v_sub_f32_e32 v87, v19, v22
	v_sub_f32_e32 v91, v83, v18
	v_sub_f32_e32 v92, v30, v19
	v_add_f32_e32 v18, v28, v16
	v_add_f32_e32 v19, v29, v17
	v_mul_f32_e32 v23, 0x3f4a47b2, v23
	v_mul_f32_e32 v29, 0x3f4a47b2, v88
	;; [unrolled: 1-line block ×4, first 2 shown]
	v_mov_b32_e32 v20, v18
	v_mov_b32_e32 v21, v19
	v_fmac_f32_e32 v20, 0xbf955555, v16
	v_fmac_f32_e32 v21, 0xbf955555, v17
	v_mov_b32_e32 v16, v23
	v_mov_b32_e32 v17, v29
	;; [unrolled: 1-line block ×4, first 2 shown]
	v_add_f32_e32 v89, v89, v83
	v_add_f32_e32 v90, v90, v30
	v_fmac_f32_e32 v16, 0x3d64c772, v84
	v_fmac_f32_e32 v17, 0x3d64c772, v85
	;; [unrolled: 1-line block ×4, first 2 shown]
	v_add_f32_e32 v93, v16, v20
	v_add_f32_e32 v94, v17, v21
	v_fmac_f32_e32 v91, 0xbee1c552, v89
	v_fmac_f32_e32 v92, 0xbee1c552, v90
	v_add_f32_e32 v16, v93, v92
	v_sub_f32_e32 v17, v94, v91
	s_waitcnt lgkmcnt(0)
	; wave barrier
	ds_write2_b64 v81, v[32:33], v[34:35] offset1:1
	ds_write2_b64 v81, v[36:37], v[38:39] offset0:2 offset1:3
	ds_write2_b64 v81, v[44:45], v[46:47] offset0:4 offset1:5
	ds_write_b64 v81, v[40:41] offset:48
	s_and_saveexec_b64 s[2:3], vcc
	s_cbranch_execz .LBB0_17
; %bb.16:
	v_sub_f32_e32 v31, v31, v42
	s_mov_b32 s13, 0x3f5ff5aa
	v_fma_f32 v23, v31, s12, -v23
	v_sub_f32_e32 v22, v22, v30
	v_mul_f32_e32 v95, 0x3d64c772, v85
	v_mul_f32_e32 v90, 0xbee1c552, v90
	v_sub_f32_e32 v43, v65, v43
	v_add_f32_e32 v42, v23, v20
	v_fma_f32 v23, v22, s13, -v28
	v_mul_f32_e32 v81, 0x3d64c772, v84
	v_mul_f32_e32 v86, 0x3f08b237, v86
	;; [unrolled: 1-line block ×3, first 2 shown]
	v_sub_f32_e32 v66, v66, v83
	v_fma_f32 v29, v43, s12, -v29
	v_add_f32_e32 v30, v90, v23
	v_fma_f32 v23, v43, s5, -v95
	v_mul_f32_e32 v89, 0xbee1c552, v89
	v_fma_f32 v83, v66, s13, -v88
	v_add_f32_e32 v65, v29, v21
	v_add_f32_e32 v23, v23, v21
	v_fma_f32 v21, v66, s4, -v86
	v_fma_f32 v22, v22, s4, -v87
	;; [unrolled: 1-line block ×3, first 2 shown]
	v_add_f32_e32 v83, v89, v83
	v_sub_f32_e32 v28, v42, v30
	v_add_f32_e32 v43, v89, v21
	v_add_f32_e32 v22, v90, v22
	;; [unrolled: 1-line block ×4, first 2 shown]
	v_lshlrev_b32_e32 v42, 3, v80
	v_add_f32_e32 v85, v91, v94
	v_sub_f32_e32 v84, v93, v92
	v_add_f32_e32 v29, v83, v65
	v_sub_f32_e32 v21, v23, v43
	v_add_f32_e32 v20, v22, v31
	v_add_f32_e32 v23, v43, v23
	v_sub_f32_e32 v22, v31, v22
	v_sub_f32_e32 v31, v65, v83
	ds_write2_b64 v42, v[18:19], v[16:17] offset1:1
	ds_write2_b64 v42, v[30:31], v[22:23] offset0:2 offset1:3
	ds_write2_b64 v42, v[20:21], v[28:29] offset0:4 offset1:5
	ds_write_b64 v42, v[84:85] offset:48
.LBB0_17:
	s_or_b64 exec, exec, s[2:3]
	s_waitcnt lgkmcnt(0)
	; wave barrier
	s_waitcnt lgkmcnt(0)
	s_and_saveexec_b64 s[2:3], s[0:1]
	s_cbranch_execz .LBB0_19
; %bb.18:
	ds_read2_b64 v[32:35], v77 offset1:56
	ds_read2_b64 v[36:39], v77 offset0:112 offset1:168
	v_add_u32_e32 v16, 0x400, v77
	v_add_u32_e32 v17, 0x800, v77
	ds_read2_b64 v[40:43], v17 offset0:80 offset1:136
	ds_read2_b64 v[44:47], v16 offset0:96 offset1:152
	ds_read_b64 v[16:17], v77 offset:3584
	s_waitcnt lgkmcnt(2)
	v_mov_b32_e32 v18, v42
	v_mov_b32_e32 v19, v43
.LBB0_19:
	s_or_b64 exec, exec, s[2:3]
	s_waitcnt lgkmcnt(0)
	; wave barrier
	s_waitcnt lgkmcnt(0)
	s_and_saveexec_b64 s[2:3], s[0:1]
	s_cbranch_execz .LBB0_21
; %bb.20:
	v_mul_f32_e32 v21, v3, v17
	v_mul_f32_e32 v31, v1, v19
	;; [unrolled: 1-line block ×5, first 2 shown]
	v_fmac_f32_e32 v21, v2, v16
	v_mul_f32_e32 v30, v7, v37
	v_fmac_f32_e32 v31, v0, v18
	v_mul_f32_e32 v43, v11, v45
	v_fma_f32 v0, v0, v19, -v1
	v_mul_f32_e32 v1, v7, v36
	v_mul_f32_e32 v11, v11, v44
	v_fma_f32 v2, v2, v17, -v3
	v_mul_f32_e32 v3, v5, v34
	v_fmac_f32_e32 v20, v4, v34
	v_mul_f32_e32 v23, v9, v39
	v_fmac_f32_e32 v30, v6, v36
	v_fmac_f32_e32 v43, v10, v44
	v_fma_f32 v6, v6, v37, -v1
	v_fma_f32 v10, v10, v45, -v11
	v_mul_f32_e32 v11, v15, v40
	v_mul_f32_e32 v9, v9, v38
	v_fma_f32 v4, v4, v35, -v3
	v_fmac_f32_e32 v23, v8, v38
	v_mul_f32_e32 v28, v15, v41
	v_add_f32_e32 v18, v0, v6
	v_fma_f32 v11, v14, v41, -v11
	v_fma_f32 v8, v8, v39, -v9
	v_add_f32_e32 v15, v2, v4
	v_fmac_f32_e32 v28, v14, v40
	v_mul_f32_e32 v65, v13, v47
	v_add_f32_e32 v14, v11, v8
	v_sub_f32_e32 v35, v6, v0
	v_add_f32_e32 v6, v18, v15
	v_fmac_f32_e32 v65, v12, v46
	v_mul_f32_e32 v7, v13, v46
	v_sub_f32_e32 v16, v4, v2
	v_add_f32_e32 v4, v14, v6
	v_sub_f32_e32 v22, v20, v21
	v_sub_f32_e32 v66, v43, v65
	v_fma_f32 v7, v12, v47, -v7
	v_add_f32_e32 v4, v10, v4
	v_sub_f32_e32 v42, v30, v31
	v_add_f32_e32 v19, v7, v10
	v_sub_f32_e32 v36, v10, v7
	v_add_f32_e32 v4, v7, v4
	v_add_f32_e32 v7, v66, v22
	v_sub_f32_e32 v9, v7, v42
	v_add_f32_e32 v7, v14, v33
	v_add_f32_e32 v6, v19, v6
	;; [unrolled: 1-line block ×4, first 2 shown]
	v_fmac_f32_e32 v7, -0.5, v6
	v_sub_f32_e32 v29, v23, v28
	v_sub_f32_e32 v34, v8, v11
	v_add_f32_e32 v31, v65, v43
	v_add_f32_e32 v23, v28, v23
	;; [unrolled: 1-line block ×3, first 2 shown]
	v_mul_f32_e32 v10, 0x3f5db3d7, v9
	v_fmac_f32_e32 v7, 0x3f5db3d7, v9
	v_add_f32_e32 v6, v36, v16
	v_add_f32_e32 v5, v33, v4
	;; [unrolled: 1-line block ×3, first 2 shown]
	v_fma_f32 v9, -2.0, v10, v7
	v_sub_f32_e32 v10, v6, v35
	v_add_f32_e32 v6, v23, v32
	v_add_f32_e32 v8, v31, v8
	v_fmac_f32_e32 v6, -0.5, v8
	v_mul_f32_e32 v11, 0x3f5db3d7, v10
	v_fmac_f32_e32 v6, 0xbf5db3d7, v10
	v_fma_f32 v8, 2.0, v11, v6
	v_mov_b32_e32 v11, v33
	v_mul_f32_e32 v10, 0xbf248dbb, v66
	v_fmac_f32_e32 v11, 0x3f441b7d, v19
	v_fmac_f32_e32 v10, 0x3f7c1c5c, v22
	;; [unrolled: 1-line block ×4, first 2 shown]
	v_fmac_f32_e32 v11, -0.5, v14
	v_add_f32_e32 v4, v43, v4
	v_fmac_f32_e32 v10, 0x3eaf1d44, v42
	v_fmac_f32_e32 v11, 0xbf708fb2, v18
	s_mov_b32 s0, 0xbf248dbb
	v_mov_b32_e32 v1, v33
	v_mul_f32_e32 v0, 0x3f7c1c5c, v36
	v_add_f32_e32 v4, v65, v4
	v_add_f32_e32 v11, v10, v11
	v_fmac_f32_e32 v33, 0x3f441b7d, v15
	v_fmac_f32_e32 v1, 0x3f441b7d, v18
	v_fma_f32 v2, v35, s0, -v0
	v_mov_b32_e32 v0, v32
	v_add_f32_e32 v4, v32, v4
	v_fma_f32 v13, -2.0, v10, v11
	v_mov_b32_e32 v10, v32
	v_fmac_f32_e32 v33, 0x3e31d0d4, v18
	v_mul_f32_e32 v18, 0x3f248dbb, v16
	v_fmac_f32_e32 v32, 0x3f441b7d, v20
	v_mul_f32_e32 v80, 0x3f7c1c5c, v66
	;; [unrolled: 2-line block ×4, first 2 shown]
	v_fmac_f32_e32 v18, 0x3f7c1c5c, v35
	v_fmac_f32_e32 v32, 0x3e31d0d4, v30
	v_fma_f32 v80, v42, s0, -v80
	v_fmac_f32_e32 v1, 0x3e31d0d4, v19
	v_fmac_f32_e32 v0, 0x3e31d0d4, v31
	;; [unrolled: 1-line block ×6, first 2 shown]
	v_fmac_f32_e32 v32, -0.5, v23
	v_fmac_f32_e32 v80, 0x3f5db3d7, v29
	v_fmac_f32_e32 v1, -0.5, v14
	v_fmac_f32_e32 v2, 0x3f5db3d7, v34
	;; [unrolled: 2-line block ×5, first 2 shown]
	v_fmac_f32_e32 v32, 0xbf708fb2, v31
	v_fmac_f32_e32 v80, 0x3eaf1d44, v22
	;; [unrolled: 1-line block ×9, first 2 shown]
	v_sub_f32_e32 v14, v32, v18
	v_add_f32_e32 v1, v80, v1
	v_sub_f32_e32 v0, v0, v2
	v_sub_f32_e32 v10, v10, v12
	v_add_f32_e32 v15, v17, v33
	v_add_lshl_u32 v19, v82, v79, 3
	v_mov_b32_e32 v16, v14
	v_fma_f32 v3, -2.0, v80, v1
	v_fma_f32 v2, 2.0, v2, v0
	v_fma_f32 v12, 2.0, v12, v10
	v_fma_f32 v17, -2.0, v17, v15
	v_fmac_f32_e32 v16, 2.0, v18
	ds_write2_b64 v19, v[4:5], v[14:15] offset1:7
	ds_write2_b64 v19, v[10:11], v[6:7] offset0:14 offset1:21
	ds_write2_b64 v19, v[0:1], v[2:3] offset0:28 offset1:35
	;; [unrolled: 1-line block ×3, first 2 shown]
	ds_write_b64 v19, v[16:17] offset:448
.LBB0_21:
	s_or_b64 exec, exec, s[2:3]
	s_waitcnt lgkmcnt(0)
	; wave barrier
	s_waitcnt lgkmcnt(0)
	ds_read2_b64 v[4:7], v77 offset1:63
	ds_read2_b64 v[8:11], v77 offset0:126 offset1:189
	v_add_u32_e32 v2, 0x400, v77
	ds_read2_b64 v[12:15], v2 offset0:124 offset1:187
	v_add_u32_e32 v3, 0x800, v77
	ds_read2_b64 v[16:19], v3 offset0:122 offset1:185
	s_waitcnt lgkmcnt(2)
	v_mul_f32_e32 v0, v25, v9
	v_fmac_f32_e32 v0, v24, v8
	v_mul_f32_e32 v1, v25, v8
	s_waitcnt lgkmcnt(1)
	v_mul_f32_e32 v8, v27, v13
	v_fma_f32 v1, v24, v9, -v1
	v_fmac_f32_e32 v8, v26, v12
	v_mul_f32_e32 v9, v27, v12
	s_waitcnt lgkmcnt(0)
	v_mul_f32_e32 v12, v68, v17
	v_fma_f32 v9, v26, v13, -v9
	v_fmac_f32_e32 v12, v67, v16
	v_mul_f32_e32 v13, v68, v16
	v_mul_f32_e32 v16, v25, v11
	v_fmac_f32_e32 v16, v24, v10
	v_mul_f32_e32 v10, v25, v10
	v_fma_f32 v13, v67, v17, -v13
	v_fma_f32 v17, v24, v11, -v10
	v_mul_f32_e32 v20, v27, v15
	v_mul_f32_e32 v10, v27, v14
	v_fmac_f32_e32 v20, v26, v14
	v_fma_f32 v14, v26, v15, -v10
	v_mul_f32_e32 v15, v68, v19
	v_mul_f32_e32 v10, v68, v18
	v_fmac_f32_e32 v15, v67, v18
	v_fma_f32 v18, v67, v19, -v10
	v_sub_f32_e32 v10, v4, v8
	v_sub_f32_e32 v11, v5, v9
	;; [unrolled: 1-line block ×4, first 2 shown]
	v_fma_f32 v4, v4, 2.0, -v10
	v_fma_f32 v5, v5, 2.0, -v11
	;; [unrolled: 1-line block ×4, first 2 shown]
	v_sub_f32_e32 v19, v6, v20
	v_sub_f32_e32 v20, v7, v14
	;; [unrolled: 1-line block ×6, first 2 shown]
	v_add_f32_e32 v8, v10, v8
	v_sub_f32_e32 v9, v11, v9
	v_fma_f32 v12, v6, 2.0, -v19
	v_fma_f32 v13, v7, 2.0, -v20
	;; [unrolled: 1-line block ×8, first 2 shown]
	v_sub_f32_e32 v6, v12, v6
	v_sub_f32_e32 v7, v13, v7
	v_add_f32_e32 v14, v19, v14
	v_sub_f32_e32 v15, v20, v15
	v_fma_f32 v12, v12, 2.0, -v6
	v_fma_f32 v13, v13, 2.0, -v7
	;; [unrolled: 1-line block ×4, first 2 shown]
	s_waitcnt lgkmcnt(0)
	; wave barrier
	ds_write2_b64 v77, v[4:5], v[10:11] offset1:63
	ds_write2_b64 v77, v[0:1], v[8:9] offset0:126 offset1:189
	ds_write2_b64 v2, v[12:13], v[16:17] offset0:124 offset1:187
	ds_write2_b64 v3, v[6:7], v[14:15] offset0:122 offset1:185
	s_waitcnt lgkmcnt(0)
	; wave barrier
	s_waitcnt lgkmcnt(0)
	ds_read2_b64 v[4:7], v2 offset0:124 offset1:187
	ds_read2_b64 v[8:11], v77 offset1:63
	ds_read2_b64 v[12:15], v77 offset0:126 offset1:189
	ds_read2_b64 v[16:19], v3 offset0:122 offset1:185
	s_mov_b32 s2, 0x10410410
	s_mov_b32 s3, 0x3f604104
	v_mad_u64_u32 v[0:1], s[0:1], s10, v54, 0
	s_waitcnt lgkmcnt(3)
	v_mul_f32_e32 v20, v70, v5
	v_fmac_f32_e32 v20, v69, v4
	v_mul_f32_e32 v4, v70, v4
	v_fma_f32 v5, v69, v5, -v4
	v_mul_f32_e32 v4, v72, v6
	v_fma_f32 v22, v71, v7, -v4
	s_waitcnt lgkmcnt(0)
	v_mul_f32_e32 v4, v74, v16
	v_mul_f32_e32 v21, v72, v7
	;; [unrolled: 1-line block ×3, first 2 shown]
	v_fma_f32 v17, v73, v17, -v4
	v_mul_f32_e32 v24, v76, v19
	v_mul_f32_e32 v4, v76, v18
	v_fmac_f32_e32 v21, v71, v6
	v_fmac_f32_e32 v23, v73, v16
	;; [unrolled: 1-line block ×3, first 2 shown]
	v_fma_f32 v19, v75, v19, -v4
	v_sub_f32_e32 v4, v8, v20
	v_sub_f32_e32 v5, v9, v5
	v_fma_f32 v6, v8, 2.0, -v4
	v_fma_f32 v7, v9, 2.0, -v5
	v_sub_f32_e32 v8, v10, v21
	v_sub_f32_e32 v9, v11, v22
	;; [unrolled: 1-line block ×6, first 2 shown]
	v_fma_f32 v10, v10, 2.0, -v8
	v_fma_f32 v11, v11, 2.0, -v9
	;; [unrolled: 1-line block ×6, first 2 shown]
	ds_write_b64 v77, v[4:5] offset:2016
	ds_write2_b64 v77, v[6:7], v[10:11] offset1:63
	ds_write2_b64 v3, v[8:9], v[16:17] offset0:59 offset1:122
	ds_write2_b64 v77, v[12:13], v[14:15] offset0:126 offset1:189
	ds_write_b64 v77, v[18:19] offset:3528
	s_waitcnt lgkmcnt(0)
	; wave barrier
	s_waitcnt lgkmcnt(0)
	ds_read2_b64 v[4:7], v77 offset1:72
	v_mad_u64_u32 v[10:11], s[0:1], s8, v78, 0
	v_mad_u64_u32 v[12:13], s[0:1], s11, v54, v[1:2]
	s_waitcnt lgkmcnt(0)
	v_mul_f32_e32 v8, v64, v5
	v_fmac_f32_e32 v8, v63, v4
	v_mul_f32_e32 v4, v64, v4
	v_fma_f32 v4, v63, v5, -v4
	v_cvt_f64_f32_e32 v[8:9], v8
	v_cvt_f64_f32_e32 v[4:5], v4
	v_mov_b32_e32 v1, v11
	v_mad_u64_u32 v[13:14], s[0:1], s9, v78, v[1:2]
	v_mul_f64 v[8:9], v[8:9], s[2:3]
	v_mul_f64 v[4:5], v[4:5], s[2:3]
	v_mov_b32_e32 v1, v12
	v_lshlrev_b64 v[0:1], 3, v[0:1]
	v_mov_b32_e32 v11, v13
	v_mov_b32_e32 v12, s7
	v_add_co_u32_e64 v13, s[0:1], s6, v0
	v_cvt_f32_f64_e32 v8, v[8:9]
	v_cvt_f32_f64_e32 v9, v[4:5]
	v_mul_f32_e32 v4, v62, v7
	v_fmac_f32_e32 v4, v61, v6
	v_cvt_f64_f32_e32 v[4:5], v4
	v_mul_f32_e32 v6, v62, v6
	v_fma_f32 v6, v61, v7, -v6
	v_cvt_f64_f32_e32 v[6:7], v6
	v_addc_co_u32_e64 v14, s[0:1], v12, v1, s[0:1]
	v_mul_f64 v[0:1], v[4:5], s[2:3]
	v_lshlrev_b64 v[4:5], 3, v[10:11]
	v_mul_f64 v[10:11], v[6:7], s[2:3]
	v_add_co_u32_e64 v12, s[0:1], v13, v4
	v_addc_co_u32_e64 v13, s[0:1], v14, v5, s[0:1]
	ds_read2_b64 v[4:7], v77 offset0:144 offset1:216
	global_store_dwordx2 v[12:13], v[8:9], off
	s_mul_i32 s0, s9, 0x48
	s_mul_hi_u32 s1, s8, 0x48
	v_cvt_f32_f64_e32 v0, v[0:1]
	s_waitcnt lgkmcnt(0)
	v_mul_f32_e32 v8, v60, v5
	v_fmac_f32_e32 v8, v59, v4
	v_mul_f32_e32 v4, v60, v4
	v_fma_f32 v4, v59, v5, -v4
	v_cvt_f64_f32_e32 v[4:5], v4
	v_cvt_f64_f32_e32 v[8:9], v8
	v_cvt_f32_f64_e32 v1, v[10:11]
	s_add_i32 s1, s1, s0
	v_mul_f64 v[4:5], v[4:5], s[2:3]
	v_mul_f64 v[8:9], v[8:9], s[2:3]
	s_mul_i32 s0, s8, 0x48
	s_lshl_b64 s[4:5], s[0:1], 3
	v_mov_b32_e32 v16, s5
	v_add_co_u32_e64 v10, s[0:1], s4, v12
	v_addc_co_u32_e64 v11, s[0:1], v13, v16, s[0:1]
	global_store_dwordx2 v[10:11], v[0:1], off
	v_cvt_f32_f64_e32 v1, v[4:5]
	v_mul_f32_e32 v4, v58, v7
	v_fmac_f32_e32 v4, v57, v6
	v_cvt_f32_f64_e32 v0, v[8:9]
	v_cvt_f64_f32_e32 v[8:9], v4
	v_mul_f32_e32 v4, v58, v6
	v_fma_f32 v4, v57, v7, -v4
	v_cvt_f64_f32_e32 v[12:13], v4
	ds_read2_b64 v[4:7], v3 offset0:32 offset1:104
	v_mul_f64 v[8:9], v[8:9], s[2:3]
	v_add_co_u32_e64 v10, s[0:1], s4, v10
	v_mul_f64 v[12:13], v[12:13], s[2:3]
	s_waitcnt lgkmcnt(0)
	v_mul_f32_e32 v14, v56, v5
	v_fmac_f32_e32 v14, v55, v4
	v_mul_f32_e32 v4, v56, v4
	v_fma_f32 v4, v55, v5, -v4
	v_cvt_f64_f32_e32 v[4:5], v4
	v_cvt_f64_f32_e32 v[14:15], v14
	v_addc_co_u32_e64 v11, s[0:1], v11, v16, s[0:1]
	v_mul_f64 v[4:5], v[4:5], s[2:3]
	global_store_dwordx2 v[10:11], v[0:1], off
	v_cvt_f32_f64_e32 v0, v[8:9]
	v_mul_f64 v[8:9], v[14:15], s[2:3]
	v_cvt_f32_f64_e32 v1, v[12:13]
	v_add_co_u32_e64 v10, s[0:1], s4, v10
	v_addc_co_u32_e64 v11, s[0:1], v11, v16, s[0:1]
	global_store_dwordx2 v[10:11], v[0:1], off
	v_cvt_f32_f64_e32 v1, v[4:5]
	v_mul_f32_e32 v4, v53, v7
	v_fmac_f32_e32 v4, v52, v6
	v_cvt_f32_f64_e32 v0, v[8:9]
	v_cvt_f64_f32_e32 v[4:5], v4
	ds_read_b64 v[8:9], v77 offset:3456
	v_mul_f32_e32 v6, v53, v6
	v_fma_f32 v6, v52, v7, -v6
	v_mul_f64 v[4:5], v[4:5], s[2:3]
	v_cvt_f64_f32_e32 v[6:7], v6
	s_waitcnt lgkmcnt(0)
	v_mul_f32_e32 v12, v51, v9
	v_fmac_f32_e32 v12, v50, v8
	v_mul_f32_e32 v8, v51, v8
	v_fma_f32 v8, v50, v9, -v8
	v_cvt_f64_f32_e32 v[12:13], v12
	v_cvt_f64_f32_e32 v[8:9], v8
	v_add_co_u32_e64 v10, s[0:1], s4, v10
	v_mul_f64 v[6:7], v[6:7], s[2:3]
	v_addc_co_u32_e64 v11, s[0:1], v11, v16, s[0:1]
	global_store_dwordx2 v[10:11], v[0:1], off
	v_cvt_f32_f64_e32 v0, v[4:5]
	v_mul_f64 v[4:5], v[12:13], s[2:3]
	v_mul_f64 v[8:9], v[8:9], s[2:3]
	v_cvt_f32_f64_e32 v1, v[6:7]
	v_add_co_u32_e64 v6, s[0:1], s4, v10
	v_addc_co_u32_e64 v7, s[0:1], v11, v16, s[0:1]
	v_cvt_f32_f64_e32 v4, v[4:5]
	v_cvt_f32_f64_e32 v5, v[8:9]
	global_store_dwordx2 v[6:7], v[0:1], off
	v_add_co_u32_e64 v0, s[0:1], s4, v6
	v_addc_co_u32_e64 v1, s[0:1], v7, v16, s[0:1]
	global_store_dwordx2 v[0:1], v[4:5], off
	s_and_b64 exec, exec, vcc
	s_cbranch_execz .LBB0_23
; %bb.22:
	global_load_dwordx2 v[12:13], v[48:49], off offset:504
	global_load_dwordx2 v[14:15], v[48:49], off offset:1080
	;; [unrolled: 1-line block ×5, first 2 shown]
	ds_read2_b64 v[4:7], v77 offset0:63 offset1:135
	v_mov_b32_e32 v8, 0xfffff478
	v_mad_u64_u32 v[22:23], s[0:1], s8, v8, v[0:1]
	ds_read2_b64 v[8:11], v2 offset0:79 offset1:151
	ds_read2_b64 v[0:3], v3 offset0:95 offset1:167
	s_mul_i32 s6, s9, 0xfffff478
	s_sub_i32 s0, s6, s8
	v_mov_b32_e32 v32, s5
	v_add_u32_e32 v23, s0, v23
	v_add_co_u32_e32 v24, vcc, s4, v22
	v_addc_co_u32_e32 v25, vcc, v23, v32, vcc
	v_add_co_u32_e32 v26, vcc, s4, v24
	v_addc_co_u32_e32 v27, vcc, v25, v32, vcc
	;; [unrolled: 2-line block ×4, first 2 shown]
	s_waitcnt vmcnt(4) lgkmcnt(2)
	v_mul_f32_e32 v33, v5, v13
	v_mul_f32_e32 v13, v4, v13
	s_waitcnt vmcnt(3)
	v_mul_f32_e32 v34, v7, v15
	v_mul_f32_e32 v15, v6, v15
	s_waitcnt vmcnt(0) lgkmcnt(0)
	v_mul_f32_e32 v37, v1, v21
	v_mul_f32_e32 v21, v0, v21
	v_fmac_f32_e32 v33, v4, v12
	v_fma_f32 v4, v12, v5, -v13
	v_mul_f32_e32 v35, v9, v17
	v_mul_f32_e32 v17, v8, v17
	v_fmac_f32_e32 v34, v6, v14
	v_fma_f32 v12, v14, v7, -v15
	v_fmac_f32_e32 v37, v0, v20
	v_fma_f32 v20, v20, v1, -v21
	v_cvt_f64_f32_e32 v[0:1], v33
	v_cvt_f64_f32_e32 v[4:5], v4
	v_mul_f32_e32 v36, v11, v19
	v_mul_f32_e32 v19, v10, v19
	v_fmac_f32_e32 v35, v8, v16
	v_fma_f32 v13, v16, v9, -v17
	v_cvt_f64_f32_e32 v[6:7], v34
	v_cvt_f64_f32_e32 v[8:9], v12
	v_fmac_f32_e32 v36, v10, v18
	v_fma_f32 v16, v18, v11, -v19
	v_cvt_f64_f32_e32 v[10:11], v35
	v_cvt_f64_f32_e32 v[12:13], v13
	;; [unrolled: 1-line block ×6, first 2 shown]
	v_mul_f64 v[0:1], v[0:1], s[2:3]
	v_mul_f64 v[4:5], v[4:5], s[2:3]
	;; [unrolled: 1-line block ×10, first 2 shown]
	v_cvt_f32_f64_e32 v0, v[0:1]
	v_cvt_f32_f64_e32 v1, v[4:5]
	;; [unrolled: 1-line block ×10, first 2 shown]
	global_store_dwordx2 v[22:23], v[0:1], off
	global_store_dwordx2 v[24:25], v[4:5], off
	;; [unrolled: 1-line block ×5, first 2 shown]
	global_load_dwordx2 v[0:1], v[48:49], off offset:3384
	s_waitcnt vmcnt(0)
	v_mul_f32_e32 v4, v3, v1
	v_mul_f32_e32 v1, v2, v1
	v_fmac_f32_e32 v4, v2, v0
	v_fma_f32 v2, v0, v3, -v1
	v_cvt_f64_f32_e32 v[0:1], v4
	v_cvt_f64_f32_e32 v[2:3], v2
	ds_read_b64 v[4:5], v77 offset:3960
	v_mul_f64 v[0:1], v[0:1], s[2:3]
	v_mul_f64 v[2:3], v[2:3], s[2:3]
	v_cvt_f32_f64_e32 v0, v[0:1]
	v_cvt_f32_f64_e32 v1, v[2:3]
	v_add_co_u32_e32 v2, vcc, s4, v30
	v_addc_co_u32_e32 v3, vcc, v31, v32, vcc
	global_store_dwordx2 v[2:3], v[0:1], off
	global_load_dwordx2 v[0:1], v[48:49], off offset:3960
	v_add_co_u32_e32 v2, vcc, s4, v2
	v_addc_co_u32_e32 v3, vcc, v3, v32, vcc
	s_waitcnt vmcnt(0) lgkmcnt(0)
	v_mul_f32_e32 v6, v5, v1
	v_mul_f32_e32 v1, v4, v1
	v_fmac_f32_e32 v6, v4, v0
	v_fma_f32 v4, v0, v5, -v1
	v_cvt_f64_f32_e32 v[0:1], v6
	v_cvt_f64_f32_e32 v[4:5], v4
	v_mul_f64 v[0:1], v[0:1], s[2:3]
	v_mul_f64 v[4:5], v[4:5], s[2:3]
	v_cvt_f32_f64_e32 v0, v[0:1]
	v_cvt_f32_f64_e32 v1, v[4:5]
	global_store_dwordx2 v[2:3], v[0:1], off
.LBB0_23:
	s_endpgm
	.section	.rodata,"a",@progbits
	.p2align	6, 0x0
	.amdhsa_kernel bluestein_single_back_len504_dim1_sp_op_CI_CI
		.amdhsa_group_segment_fixed_size 4032
		.amdhsa_private_segment_fixed_size 0
		.amdhsa_kernarg_size 104
		.amdhsa_user_sgpr_count 6
		.amdhsa_user_sgpr_private_segment_buffer 1
		.amdhsa_user_sgpr_dispatch_ptr 0
		.amdhsa_user_sgpr_queue_ptr 0
		.amdhsa_user_sgpr_kernarg_segment_ptr 1
		.amdhsa_user_sgpr_dispatch_id 0
		.amdhsa_user_sgpr_flat_scratch_init 0
		.amdhsa_user_sgpr_private_segment_size 0
		.amdhsa_uses_dynamic_stack 0
		.amdhsa_system_sgpr_private_segment_wavefront_offset 0
		.amdhsa_system_sgpr_workgroup_id_x 1
		.amdhsa_system_sgpr_workgroup_id_y 0
		.amdhsa_system_sgpr_workgroup_id_z 0
		.amdhsa_system_sgpr_workgroup_info 0
		.amdhsa_system_vgpr_workitem_id 0
		.amdhsa_next_free_vgpr 107
		.amdhsa_next_free_sgpr 18
		.amdhsa_reserve_vcc 1
		.amdhsa_reserve_flat_scratch 0
		.amdhsa_float_round_mode_32 0
		.amdhsa_float_round_mode_16_64 0
		.amdhsa_float_denorm_mode_32 3
		.amdhsa_float_denorm_mode_16_64 3
		.amdhsa_dx10_clamp 1
		.amdhsa_ieee_mode 1
		.amdhsa_fp16_overflow 0
		.amdhsa_exception_fp_ieee_invalid_op 0
		.amdhsa_exception_fp_denorm_src 0
		.amdhsa_exception_fp_ieee_div_zero 0
		.amdhsa_exception_fp_ieee_overflow 0
		.amdhsa_exception_fp_ieee_underflow 0
		.amdhsa_exception_fp_ieee_inexact 0
		.amdhsa_exception_int_div_zero 0
	.end_amdhsa_kernel
	.text
.Lfunc_end0:
	.size	bluestein_single_back_len504_dim1_sp_op_CI_CI, .Lfunc_end0-bluestein_single_back_len504_dim1_sp_op_CI_CI
                                        ; -- End function
	.section	.AMDGPU.csdata,"",@progbits
; Kernel info:
; codeLenInByte = 8812
; NumSgprs: 22
; NumVgprs: 107
; ScratchSize: 0
; MemoryBound: 0
; FloatMode: 240
; IeeeMode: 1
; LDSByteSize: 4032 bytes/workgroup (compile time only)
; SGPRBlocks: 2
; VGPRBlocks: 26
; NumSGPRsForWavesPerEU: 22
; NumVGPRsForWavesPerEU: 107
; Occupancy: 2
; WaveLimiterHint : 1
; COMPUTE_PGM_RSRC2:SCRATCH_EN: 0
; COMPUTE_PGM_RSRC2:USER_SGPR: 6
; COMPUTE_PGM_RSRC2:TRAP_HANDLER: 0
; COMPUTE_PGM_RSRC2:TGID_X_EN: 1
; COMPUTE_PGM_RSRC2:TGID_Y_EN: 0
; COMPUTE_PGM_RSRC2:TGID_Z_EN: 0
; COMPUTE_PGM_RSRC2:TIDIG_COMP_CNT: 0
	.type	__hip_cuid_33f928c46561eeab,@object ; @__hip_cuid_33f928c46561eeab
	.section	.bss,"aw",@nobits
	.globl	__hip_cuid_33f928c46561eeab
__hip_cuid_33f928c46561eeab:
	.byte	0                               ; 0x0
	.size	__hip_cuid_33f928c46561eeab, 1

	.ident	"AMD clang version 19.0.0git (https://github.com/RadeonOpenCompute/llvm-project roc-6.4.0 25133 c7fe45cf4b819c5991fe208aaa96edf142730f1d)"
	.section	".note.GNU-stack","",@progbits
	.addrsig
	.addrsig_sym __hip_cuid_33f928c46561eeab
	.amdgpu_metadata
---
amdhsa.kernels:
  - .args:
      - .actual_access:  read_only
        .address_space:  global
        .offset:         0
        .size:           8
        .value_kind:     global_buffer
      - .actual_access:  read_only
        .address_space:  global
        .offset:         8
        .size:           8
        .value_kind:     global_buffer
      - .actual_access:  read_only
        .address_space:  global
        .offset:         16
        .size:           8
        .value_kind:     global_buffer
      - .actual_access:  read_only
        .address_space:  global
        .offset:         24
        .size:           8
        .value_kind:     global_buffer
      - .actual_access:  read_only
        .address_space:  global
        .offset:         32
        .size:           8
        .value_kind:     global_buffer
      - .offset:         40
        .size:           8
        .value_kind:     by_value
      - .address_space:  global
        .offset:         48
        .size:           8
        .value_kind:     global_buffer
      - .address_space:  global
        .offset:         56
        .size:           8
        .value_kind:     global_buffer
      - .address_space:  global
        .offset:         64
        .size:           8
        .value_kind:     global_buffer
      - .address_space:  global
        .offset:         72
        .size:           8
        .value_kind:     global_buffer
      - .offset:         80
        .size:           4
        .value_kind:     by_value
      - .address_space:  global
        .offset:         88
        .size:           8
        .value_kind:     global_buffer
      - .address_space:  global
        .offset:         96
        .size:           8
        .value_kind:     global_buffer
    .group_segment_fixed_size: 4032
    .kernarg_segment_align: 8
    .kernarg_segment_size: 104
    .language:       OpenCL C
    .language_version:
      - 2
      - 0
    .max_flat_workgroup_size: 63
    .name:           bluestein_single_back_len504_dim1_sp_op_CI_CI
    .private_segment_fixed_size: 0
    .sgpr_count:     22
    .sgpr_spill_count: 0
    .symbol:         bluestein_single_back_len504_dim1_sp_op_CI_CI.kd
    .uniform_work_group_size: 1
    .uses_dynamic_stack: false
    .vgpr_count:     107
    .vgpr_spill_count: 0
    .wavefront_size: 64
amdhsa.target:   amdgcn-amd-amdhsa--gfx906
amdhsa.version:
  - 1
  - 2
...

	.end_amdgpu_metadata
